;; amdgpu-corpus repo=ROCm/rocFFT kind=compiled arch=gfx1201 opt=O3
	.text
	.amdgcn_target "amdgcn-amd-amdhsa--gfx1201"
	.amdhsa_code_object_version 6
	.protected	fft_rtc_fwd_len330_factors_11_10_3_wgs_99_tpt_33_dp_ip_CI_unitstride_sbrr_R2C_dirReg ; -- Begin function fft_rtc_fwd_len330_factors_11_10_3_wgs_99_tpt_33_dp_ip_CI_unitstride_sbrr_R2C_dirReg
	.globl	fft_rtc_fwd_len330_factors_11_10_3_wgs_99_tpt_33_dp_ip_CI_unitstride_sbrr_R2C_dirReg
	.p2align	8
	.type	fft_rtc_fwd_len330_factors_11_10_3_wgs_99_tpt_33_dp_ip_CI_unitstride_sbrr_R2C_dirReg,@function
fft_rtc_fwd_len330_factors_11_10_3_wgs_99_tpt_33_dp_ip_CI_unitstride_sbrr_R2C_dirReg: ; @fft_rtc_fwd_len330_factors_11_10_3_wgs_99_tpt_33_dp_ip_CI_unitstride_sbrr_R2C_dirReg
; %bb.0:
	s_load_b128 s[4:7], s[0:1], 0x0
	v_mul_u32_u24_e32 v1, 0x7c2, v0
	s_clause 0x1
	s_load_b64 s[8:9], s[0:1], 0x50
	s_load_b64 s[10:11], s[0:1], 0x18
	v_mov_b32_e32 v5, 0
	v_lshrrev_b32_e32 v1, 16, v1
	s_delay_alu instid0(VALU_DEP_1) | instskip(SKIP_3) | instid1(VALU_DEP_1)
	v_mad_co_u64_u32 v[1:2], null, ttmp9, 3, v[1:2]
	v_mov_b32_e32 v3, 0
	v_mov_b32_e32 v4, 0
	;; [unrolled: 1-line block ×4, first 2 shown]
	s_wait_kmcnt 0x0
	v_cmp_lt_u64_e64 s2, s[6:7], 2
	v_mov_b32_e32 v9, v1
	s_delay_alu instid0(VALU_DEP_2)
	s_and_b32 vcc_lo, exec_lo, s2
	s_cbranch_vccnz .LBB0_8
; %bb.1:
	s_load_b64 s[2:3], s[0:1], 0x10
	v_dual_mov_b32 v3, 0 :: v_dual_mov_b32 v8, v2
	v_dual_mov_b32 v4, 0 :: v_dual_mov_b32 v7, v1
	s_add_nc_u64 s[12:13], s[10:11], 8
	s_mov_b64 s[14:15], 1
	s_wait_kmcnt 0x0
	s_add_nc_u64 s[16:17], s[2:3], 8
	s_mov_b32 s3, 0
.LBB0_2:                                ; =>This Inner Loop Header: Depth=1
	s_load_b64 s[18:19], s[16:17], 0x0
                                        ; implicit-def: $vgpr9_vgpr10
	s_mov_b32 s2, exec_lo
	s_wait_kmcnt 0x0
	v_or_b32_e32 v6, s19, v8
	s_delay_alu instid0(VALU_DEP_1)
	v_cmpx_ne_u64_e32 0, v[5:6]
	s_wait_alu 0xfffe
	s_xor_b32 s20, exec_lo, s2
	s_cbranch_execz .LBB0_4
; %bb.3:                                ;   in Loop: Header=BB0_2 Depth=1
	s_cvt_f32_u32 s2, s18
	s_cvt_f32_u32 s21, s19
	s_sub_nc_u64 s[24:25], 0, s[18:19]
	s_wait_alu 0xfffe
	s_delay_alu instid0(SALU_CYCLE_1) | instskip(SKIP_1) | instid1(SALU_CYCLE_2)
	s_fmamk_f32 s2, s21, 0x4f800000, s2
	s_wait_alu 0xfffe
	v_s_rcp_f32 s2, s2
	s_delay_alu instid0(TRANS32_DEP_1) | instskip(SKIP_1) | instid1(SALU_CYCLE_2)
	s_mul_f32 s2, s2, 0x5f7ffffc
	s_wait_alu 0xfffe
	s_mul_f32 s21, s2, 0x2f800000
	s_wait_alu 0xfffe
	s_delay_alu instid0(SALU_CYCLE_2) | instskip(SKIP_1) | instid1(SALU_CYCLE_2)
	s_trunc_f32 s21, s21
	s_wait_alu 0xfffe
	s_fmamk_f32 s2, s21, 0xcf800000, s2
	s_cvt_u32_f32 s23, s21
	s_wait_alu 0xfffe
	s_delay_alu instid0(SALU_CYCLE_1) | instskip(SKIP_1) | instid1(SALU_CYCLE_2)
	s_cvt_u32_f32 s22, s2
	s_wait_alu 0xfffe
	s_mul_u64 s[26:27], s[24:25], s[22:23]
	s_wait_alu 0xfffe
	s_mul_hi_u32 s29, s22, s27
	s_mul_i32 s28, s22, s27
	s_mul_hi_u32 s2, s22, s26
	s_mul_i32 s30, s23, s26
	s_wait_alu 0xfffe
	s_add_nc_u64 s[28:29], s[2:3], s[28:29]
	s_mul_hi_u32 s21, s23, s26
	s_mul_hi_u32 s31, s23, s27
	s_add_co_u32 s2, s28, s30
	s_wait_alu 0xfffe
	s_add_co_ci_u32 s2, s29, s21
	s_mul_i32 s26, s23, s27
	s_add_co_ci_u32 s27, s31, 0
	s_wait_alu 0xfffe
	s_add_nc_u64 s[26:27], s[2:3], s[26:27]
	s_wait_alu 0xfffe
	v_add_co_u32 v2, s2, s22, s26
	s_delay_alu instid0(VALU_DEP_1) | instskip(SKIP_1) | instid1(VALU_DEP_1)
	s_cmp_lg_u32 s2, 0
	s_add_co_ci_u32 s23, s23, s27
	v_readfirstlane_b32 s22, v2
	s_wait_alu 0xfffe
	s_delay_alu instid0(VALU_DEP_1)
	s_mul_u64 s[24:25], s[24:25], s[22:23]
	s_wait_alu 0xfffe
	s_mul_hi_u32 s27, s22, s25
	s_mul_i32 s26, s22, s25
	s_mul_hi_u32 s2, s22, s24
	s_mul_i32 s28, s23, s24
	s_wait_alu 0xfffe
	s_add_nc_u64 s[26:27], s[2:3], s[26:27]
	s_mul_hi_u32 s21, s23, s24
	s_mul_hi_u32 s22, s23, s25
	s_wait_alu 0xfffe
	s_add_co_u32 s2, s26, s28
	s_add_co_ci_u32 s2, s27, s21
	s_mul_i32 s24, s23, s25
	s_add_co_ci_u32 s25, s22, 0
	s_wait_alu 0xfffe
	s_add_nc_u64 s[24:25], s[2:3], s[24:25]
	s_wait_alu 0xfffe
	v_add_co_u32 v2, s2, v2, s24
	s_delay_alu instid0(VALU_DEP_1) | instskip(SKIP_1) | instid1(VALU_DEP_1)
	s_cmp_lg_u32 s2, 0
	s_add_co_ci_u32 s2, s23, s25
	v_mul_hi_u32 v6, v7, v2
	s_wait_alu 0xfffe
	v_mad_co_u64_u32 v[9:10], null, v7, s2, 0
	v_mad_co_u64_u32 v[11:12], null, v8, v2, 0
	;; [unrolled: 1-line block ×3, first 2 shown]
	s_delay_alu instid0(VALU_DEP_3) | instskip(SKIP_1) | instid1(VALU_DEP_4)
	v_add_co_u32 v2, vcc_lo, v6, v9
	s_wait_alu 0xfffd
	v_add_co_ci_u32_e32 v6, vcc_lo, 0, v10, vcc_lo
	s_delay_alu instid0(VALU_DEP_2) | instskip(SKIP_1) | instid1(VALU_DEP_2)
	v_add_co_u32 v2, vcc_lo, v2, v11
	s_wait_alu 0xfffd
	v_add_co_ci_u32_e32 v2, vcc_lo, v6, v12, vcc_lo
	s_wait_alu 0xfffd
	v_add_co_ci_u32_e32 v6, vcc_lo, 0, v14, vcc_lo
	s_delay_alu instid0(VALU_DEP_2) | instskip(SKIP_1) | instid1(VALU_DEP_2)
	v_add_co_u32 v2, vcc_lo, v2, v13
	s_wait_alu 0xfffd
	v_add_co_ci_u32_e32 v6, vcc_lo, 0, v6, vcc_lo
	s_delay_alu instid0(VALU_DEP_2) | instskip(SKIP_1) | instid1(VALU_DEP_3)
	v_mul_lo_u32 v11, s19, v2
	v_mad_co_u64_u32 v[9:10], null, s18, v2, 0
	v_mul_lo_u32 v12, s18, v6
	s_delay_alu instid0(VALU_DEP_2) | instskip(NEXT) | instid1(VALU_DEP_2)
	v_sub_co_u32 v9, vcc_lo, v7, v9
	v_add3_u32 v10, v10, v12, v11
	s_delay_alu instid0(VALU_DEP_1) | instskip(SKIP_1) | instid1(VALU_DEP_1)
	v_sub_nc_u32_e32 v11, v8, v10
	s_wait_alu 0xfffd
	v_subrev_co_ci_u32_e64 v11, s2, s19, v11, vcc_lo
	v_add_co_u32 v12, s2, v2, 2
	s_wait_alu 0xf1ff
	v_add_co_ci_u32_e64 v13, s2, 0, v6, s2
	v_sub_co_u32 v14, s2, v9, s18
	v_sub_co_ci_u32_e32 v10, vcc_lo, v8, v10, vcc_lo
	s_wait_alu 0xf1ff
	v_subrev_co_ci_u32_e64 v11, s2, 0, v11, s2
	s_delay_alu instid0(VALU_DEP_3) | instskip(NEXT) | instid1(VALU_DEP_3)
	v_cmp_le_u32_e32 vcc_lo, s18, v14
	v_cmp_eq_u32_e64 s2, s19, v10
	s_wait_alu 0xfffd
	v_cndmask_b32_e64 v14, 0, -1, vcc_lo
	v_cmp_le_u32_e32 vcc_lo, s19, v11
	s_wait_alu 0xfffd
	v_cndmask_b32_e64 v15, 0, -1, vcc_lo
	v_cmp_le_u32_e32 vcc_lo, s18, v9
	;; [unrolled: 3-line block ×3, first 2 shown]
	s_wait_alu 0xfffd
	v_cndmask_b32_e64 v16, 0, -1, vcc_lo
	v_cmp_eq_u32_e32 vcc_lo, s19, v11
	s_wait_alu 0xf1ff
	s_delay_alu instid0(VALU_DEP_2)
	v_cndmask_b32_e64 v9, v16, v9, s2
	s_wait_alu 0xfffd
	v_cndmask_b32_e32 v11, v15, v14, vcc_lo
	v_add_co_u32 v14, vcc_lo, v2, 1
	s_wait_alu 0xfffd
	v_add_co_ci_u32_e32 v15, vcc_lo, 0, v6, vcc_lo
	s_delay_alu instid0(VALU_DEP_3) | instskip(SKIP_1) | instid1(VALU_DEP_2)
	v_cmp_ne_u32_e32 vcc_lo, 0, v11
	s_wait_alu 0xfffd
	v_dual_cndmask_b32 v10, v15, v13 :: v_dual_cndmask_b32 v11, v14, v12
	v_cmp_ne_u32_e32 vcc_lo, 0, v9
	s_wait_alu 0xfffd
	s_delay_alu instid0(VALU_DEP_2) | instskip(NEXT) | instid1(VALU_DEP_3)
	v_cndmask_b32_e32 v10, v6, v10, vcc_lo
	v_cndmask_b32_e32 v9, v2, v11, vcc_lo
.LBB0_4:                                ;   in Loop: Header=BB0_2 Depth=1
	s_wait_alu 0xfffe
	s_and_not1_saveexec_b32 s2, s20
	s_cbranch_execz .LBB0_6
; %bb.5:                                ;   in Loop: Header=BB0_2 Depth=1
	v_cvt_f32_u32_e32 v2, s18
	s_sub_co_i32 s20, 0, s18
	s_delay_alu instid0(VALU_DEP_1) | instskip(NEXT) | instid1(TRANS32_DEP_1)
	v_rcp_iflag_f32_e32 v2, v2
	v_mul_f32_e32 v2, 0x4f7ffffe, v2
	s_delay_alu instid0(VALU_DEP_1) | instskip(SKIP_1) | instid1(VALU_DEP_1)
	v_cvt_u32_f32_e32 v2, v2
	s_wait_alu 0xfffe
	v_mul_lo_u32 v6, s20, v2
	s_delay_alu instid0(VALU_DEP_1) | instskip(NEXT) | instid1(VALU_DEP_1)
	v_mul_hi_u32 v6, v2, v6
	v_add_nc_u32_e32 v2, v2, v6
	s_delay_alu instid0(VALU_DEP_1) | instskip(NEXT) | instid1(VALU_DEP_1)
	v_mul_hi_u32 v2, v7, v2
	v_mul_lo_u32 v6, v2, s18
	v_add_nc_u32_e32 v9, 1, v2
	s_delay_alu instid0(VALU_DEP_2) | instskip(NEXT) | instid1(VALU_DEP_1)
	v_sub_nc_u32_e32 v6, v7, v6
	v_subrev_nc_u32_e32 v10, s18, v6
	v_cmp_le_u32_e32 vcc_lo, s18, v6
	s_wait_alu 0xfffd
	s_delay_alu instid0(VALU_DEP_2) | instskip(SKIP_2) | instid1(VALU_DEP_3)
	v_cndmask_b32_e32 v6, v6, v10, vcc_lo
	v_mov_b32_e32 v10, v5
	v_cndmask_b32_e32 v2, v2, v9, vcc_lo
	v_cmp_le_u32_e32 vcc_lo, s18, v6
	s_delay_alu instid0(VALU_DEP_2) | instskip(SKIP_1) | instid1(VALU_DEP_1)
	v_add_nc_u32_e32 v9, 1, v2
	s_wait_alu 0xfffd
	v_cndmask_b32_e32 v9, v2, v9, vcc_lo
.LBB0_6:                                ;   in Loop: Header=BB0_2 Depth=1
	s_wait_alu 0xfffe
	s_or_b32 exec_lo, exec_lo, s2
	s_load_b64 s[20:21], s[12:13], 0x0
	v_mul_lo_u32 v2, v10, s18
	v_mul_lo_u32 v6, v9, s19
	v_mad_co_u64_u32 v[11:12], null, v9, s18, 0
	s_add_nc_u64 s[14:15], s[14:15], 1
	s_add_nc_u64 s[12:13], s[12:13], 8
	s_wait_alu 0xfffe
	v_cmp_ge_u64_e64 s2, s[14:15], s[6:7]
	s_add_nc_u64 s[16:17], s[16:17], 8
	s_delay_alu instid0(VALU_DEP_2) | instskip(NEXT) | instid1(VALU_DEP_3)
	v_add3_u32 v2, v12, v6, v2
	v_sub_co_u32 v6, vcc_lo, v7, v11
	s_wait_alu 0xfffd
	s_delay_alu instid0(VALU_DEP_2) | instskip(SKIP_3) | instid1(VALU_DEP_2)
	v_sub_co_ci_u32_e32 v2, vcc_lo, v8, v2, vcc_lo
	s_and_b32 vcc_lo, exec_lo, s2
	s_wait_kmcnt 0x0
	v_mul_lo_u32 v7, s21, v6
	v_mul_lo_u32 v2, s20, v2
	v_mad_co_u64_u32 v[3:4], null, s20, v6, v[3:4]
	s_delay_alu instid0(VALU_DEP_1)
	v_add3_u32 v4, v7, v4, v2
	s_wait_alu 0xfffe
	s_cbranch_vccnz .LBB0_8
; %bb.7:                                ;   in Loop: Header=BB0_2 Depth=1
	v_dual_mov_b32 v7, v9 :: v_dual_mov_b32 v8, v10
	s_branch .LBB0_2
.LBB0_8:
	s_lshl_b64 s[2:3], s[6:7], 3
	v_mul_hi_u32 v2, 0xaaaaaaab, v1
	s_wait_alu 0xfffe
	s_add_nc_u64 s[2:3], s[10:11], s[2:3]
	s_load_b64 s[0:1], s[0:1], 0x20
	s_load_b64 s[2:3], s[2:3], 0x0
	v_mul_hi_u32 v5, 0x7c1f07d, v0
	s_delay_alu instid0(VALU_DEP_2) | instskip(NEXT) | instid1(VALU_DEP_1)
	v_lshrrev_b32_e32 v2, 1, v2
	v_lshl_add_u32 v6, v2, 1, v2
	s_delay_alu instid0(VALU_DEP_1)
	v_sub_nc_u32_e32 v1, v1, v6
	s_wait_kmcnt 0x0
	v_cmp_gt_u64_e32 vcc_lo, s[0:1], v[9:10]
	v_mul_lo_u32 v7, s2, v10
	v_mul_lo_u32 v8, s3, v9
	v_mad_co_u64_u32 v[2:3], null, s2, v9, v[3:4]
	v_mul_u32_u24_e32 v4, 33, v5
	v_mul_u32_u24_e32 v114, 0x14b, v1
	s_delay_alu instid0(VALU_DEP_2) | instskip(NEXT) | instid1(VALU_DEP_4)
	v_sub_nc_u32_e32 v48, v0, v4
	v_add3_u32 v3, v8, v3, v7
	s_delay_alu instid0(VALU_DEP_3) | instskip(NEXT) | instid1(VALU_DEP_3)
	v_lshlrev_b32_e32 v117, 4, v114
	v_lshlrev_b32_e32 v113, 4, v48
	s_delay_alu instid0(VALU_DEP_3)
	v_lshlrev_b64_e32 v[50:51], 4, v[2:3]
	s_and_saveexec_b32 s1, vcc_lo
	s_cbranch_execz .LBB0_10
; %bb.9:
	v_mov_b32_e32 v49, 0
	s_delay_alu instid0(VALU_DEP_2) | instskip(SKIP_2) | instid1(VALU_DEP_3)
	v_add_co_u32 v2, s0, s8, v50
	s_wait_alu 0xf1ff
	v_add_co_ci_u32_e64 v3, s0, s9, v51, s0
	v_lshlrev_b64_e32 v[0:1], 4, v[48:49]
	v_add3_u32 v40, 0, v117, v113
	s_delay_alu instid0(VALU_DEP_2) | instskip(SKIP_1) | instid1(VALU_DEP_3)
	v_add_co_u32 v36, s0, v2, v0
	s_wait_alu 0xf1ff
	v_add_co_ci_u32_e64 v37, s0, v3, v1, s0
	s_clause 0x9
	global_load_b128 v[0:3], v[36:37], off
	global_load_b128 v[4:7], v[36:37], off offset:528
	global_load_b128 v[8:11], v[36:37], off offset:1056
	;; [unrolled: 1-line block ×9, first 2 shown]
	s_wait_loadcnt 0x9
	ds_store_b128 v40, v[0:3]
	s_wait_loadcnt 0x8
	ds_store_b128 v40, v[4:7] offset:528
	s_wait_loadcnt 0x7
	ds_store_b128 v40, v[8:11] offset:1056
	s_wait_loadcnt 0x6
	ds_store_b128 v40, v[12:15] offset:1584
	s_wait_loadcnt 0x5
	ds_store_b128 v40, v[16:19] offset:2112
	s_wait_loadcnt 0x4
	ds_store_b128 v40, v[20:23] offset:2640
	s_wait_loadcnt 0x3
	ds_store_b128 v40, v[24:27] offset:3168
	s_wait_loadcnt 0x2
	ds_store_b128 v40, v[28:31] offset:3696
	s_wait_loadcnt 0x1
	ds_store_b128 v40, v[32:35] offset:4224
	s_wait_loadcnt 0x0
	ds_store_b128 v40, v[36:39] offset:4752
.LBB0_10:
	s_wait_alu 0xfffe
	s_or_b32 exec_lo, exec_lo, s1
	v_add_nc_u32_e32 v116, 0, v113
	global_wb scope:SCOPE_SE
	s_wait_dscnt 0x0
	s_barrier_signal -1
	s_barrier_wait -1
	global_inv scope:SCOPE_SE
	v_add_nc_u32_e32 v49, v116, v117
	v_add_nc_u32_e32 v115, 0, v117
	s_mov_b32 s2, 0xf8bb580b
	s_mov_b32 s3, 0xbfe14ced
	;; [unrolled: 1-line block ×3, first 2 shown]
	ds_load_b128 v[4:7], v49 offset:4800
	ds_load_b128 v[36:39], v49 offset:480
	v_add_nc_u32_e32 v112, v115, v113
	s_mov_b32 s10, 0x8eee2c13
	s_mov_b32 s7, 0x3feaeb8c
	;; [unrolled: 1-line block ×4, first 2 shown]
	ds_load_b128 v[20:23], v112
	ds_load_b128 v[8:11], v49 offset:4320
	ds_load_b128 v[44:47], v49 offset:960
	;; [unrolled: 1-line block ×6, first 2 shown]
	s_mov_b32 s14, 0x43842ef
	s_mov_b32 s13, 0x3fda9628
	;; [unrolled: 1-line block ×3, first 2 shown]
	ds_load_b128 v[28:31], v49 offset:2400
	ds_load_b128 v[24:27], v49 offset:2880
	s_mov_b32 s18, 0x640f44db
	s_mov_b32 s16, 0xbb3a28a1
	;; [unrolled: 1-line block ×6, first 2 shown]
	s_wait_dscnt 0x9
	v_add_f64_e64 v[108:109], v[38:39], -v[6:7]
	v_add_f64_e64 v[70:71], v[36:37], -v[4:5]
	v_add_f64_e32 v[74:75], v[36:37], v[4:5]
	v_add_f64_e32 v[110:111], v[38:39], v[6:7]
	s_mov_b32 s21, 0xbfe4f49e
	s_mov_b32 s23, 0xbfd207e7
	;; [unrolled: 1-line block ×3, first 2 shown]
	s_wait_dscnt 0x6
	v_add_f64_e64 v[90:91], v[46:47], -v[10:11]
	v_add_f64_e64 v[68:69], v[44:45], -v[8:9]
	v_add_f64_e32 v[52:53], v[44:45], v[8:9]
	s_wait_dscnt 0x4
	v_add_f64_e64 v[82:83], v[42:43], -v[14:15]
	v_add_f64_e32 v[102:103], v[46:47], v[10:11]
	v_add_f64_e64 v[54:55], v[40:41], -v[12:13]
	v_add_f64_e32 v[92:93], v[40:41], v[12:13]
	v_add_f64_e32 v[104:105], v[42:43], v[14:15]
	s_wait_dscnt 0x2
	v_add_f64_e64 v[88:89], v[34:35], -v[18:19]
	v_add_f64_e64 v[66:67], v[32:33], -v[16:17]
	v_add_f64_e32 v[64:65], v[32:33], v[16:17]
	v_add_f64_e32 v[106:107], v[34:35], v[18:19]
	s_wait_dscnt 0x0
	v_add_f64_e64 v[94:95], v[30:31], -v[26:27]
	v_add_f64_e64 v[56:57], v[28:29], -v[24:25]
	v_add_f64_e32 v[100:101], v[30:31], v[26:27]
	s_mov_b32 s25, 0xbfeeb42a
	s_mov_b32 s33, exec_lo
	global_wb scope:SCOPE_SE
	s_barrier_signal -1
	s_barrier_wait -1
	global_inv scope:SCOPE_SE
	s_wait_alu 0xfffe
	v_mul_f64_e32 v[78:79], s[2:3], v[108:109]
	v_mul_f64_e32 v[80:81], s[2:3], v[70:71]
	;; [unrolled: 1-line block ×9, first 2 shown]
	v_fma_f64 v[0:1], v[74:75], s[6:7], v[78:79]
	v_fma_f64 v[2:3], v[110:111], s[6:7], -v[80:81]
	v_fma_f64 v[58:59], v[52:53], s[12:13], v[72:73]
	v_fma_f64 v[60:61], v[102:103], s[12:13], -v[76:77]
	;; [unrolled: 2-line block ×4, first 2 shown]
	v_add_f64_e32 v[0:1], v[20:21], v[0:1]
	v_add_f64_e32 v[2:3], v[22:23], v[2:3]
	s_delay_alu instid0(VALU_DEP_2) | instskip(NEXT) | instid1(VALU_DEP_2)
	v_add_f64_e32 v[0:1], v[58:59], v[0:1]
	v_add_f64_e32 v[2:3], v[60:61], v[2:3]
	;; [unrolled: 1-line block ×3, first 2 shown]
	v_mul_f64_e32 v[60:61], s[22:23], v[94:95]
	s_delay_alu instid0(VALU_DEP_4) | instskip(NEXT) | instid1(VALU_DEP_4)
	v_add_f64_e32 v[0:1], v[118:119], v[0:1]
	v_add_f64_e32 v[2:3], v[120:121], v[2:3]
	v_fma_f64 v[120:121], v[100:101], s[24:25], -v[62:63]
	s_delay_alu instid0(VALU_DEP_4) | instskip(NEXT) | instid1(VALU_DEP_4)
	v_fma_f64 v[118:119], v[58:59], s[24:25], v[60:61]
	v_add_f64_e32 v[0:1], v[122:123], v[0:1]
	s_delay_alu instid0(VALU_DEP_4) | instskip(NEXT) | instid1(VALU_DEP_2)
	v_add_f64_e32 v[2:3], v[124:125], v[2:3]
	v_add_f64_e32 v[0:1], v[118:119], v[0:1]
	s_delay_alu instid0(VALU_DEP_2)
	v_add_f64_e32 v[2:3], v[120:121], v[2:3]
	v_cmpx_gt_u32_e32 30, v48
	s_cbranch_execz .LBB0_12
; %bb.11:
	v_add_f64_e32 v[38:39], v[22:23], v[38:39]
	v_add_f64_e32 v[36:37], v[20:21], v[36:37]
	v_mul_f64_e32 v[118:119], s[20:21], v[110:111]
	v_mul_f64_e32 v[120:121], s[16:17], v[108:109]
	;; [unrolled: 1-line block ×4, first 2 shown]
	s_mov_b32 s35, 0x3fd207e7
	s_mov_b32 s34, s22
	;; [unrolled: 1-line block ×10, first 2 shown]
	v_mul_f64_e32 v[128:129], s[20:21], v[104:105]
	v_mul_f64_e32 v[142:143], s[6:7], v[102:103]
	;; [unrolled: 1-line block ×8, first 2 shown]
	s_wait_alu 0xfffe
	v_mul_f64_e32 v[176:177], s[26:27], v[90:91]
	v_mul_f64_e32 v[90:91], s[34:35], v[90:91]
	;; [unrolled: 1-line block ×14, first 2 shown]
	v_add_f64_e32 v[38:39], v[38:39], v[46:47]
	v_add_f64_e32 v[36:37], v[36:37], v[44:45]
	v_mul_f64_e32 v[44:45], s[24:25], v[110:111]
	v_mul_f64_e32 v[46:47], s[22:23], v[108:109]
	v_fma_f64 v[182:183], v[70:71], s[0:1], v[118:119]
	v_fma_f64 v[184:185], v[74:75], s[20:21], v[120:121]
	;; [unrolled: 1-line block ×3, first 2 shown]
	v_fma_f64 v[120:121], v[74:75], s[20:21], -v[120:121]
	v_fma_f64 v[186:187], v[70:71], s[26:27], v[122:123]
	v_fma_f64 v[188:189], v[74:75], s[18:19], v[124:125]
	;; [unrolled: 1-line block ×3, first 2 shown]
	v_fma_f64 v[124:125], v[74:75], s[18:19], -v[124:125]
	v_mul_f64_e32 v[106:107], s[20:21], v[106:107]
	v_mul_f64_e32 v[162:163], s[22:23], v[88:89]
	;; [unrolled: 1-line block ×8, first 2 shown]
	v_add_f64_e32 v[76:77], v[76:77], v[102:103]
	v_fma_f64 v[102:103], v[52:53], s[20:21], -v[154:155]
	v_add_f64_e64 v[72:73], v[152:153], -v[72:73]
	v_fma_f64 v[152:153], v[52:53], s[6:7], -v[174:175]
	v_add_f64_e64 v[96:97], v[150:151], -v[96:97]
	v_fma_f64 v[150:151], v[92:93], s[6:7], -v[158:159]
	v_add_f64_e32 v[38:39], v[38:39], v[42:43]
	v_add_f64_e32 v[36:37], v[36:37], v[40:41]
	v_mul_f64_e32 v[40:41], s[12:13], v[110:111]
	v_mul_f64_e32 v[42:43], s[10:11], v[108:109]
	;; [unrolled: 1-line block ×4, first 2 shown]
	v_fma_f64 v[178:179], v[70:71], s[34:35], v[44:45]
	v_fma_f64 v[180:181], v[74:75], s[24:25], v[46:47]
	v_fma_f64 v[44:45], v[70:71], s[22:23], v[44:45]
	v_fma_f64 v[46:47], v[74:75], s[24:25], -v[46:47]
	v_add_f64_e32 v[182:183], v[22:23], v[182:183]
	v_add_f64_e32 v[118:119], v[22:23], v[118:119]
	;; [unrolled: 1-line block ×9, first 2 shown]
	v_fma_f64 v[106:107], v[64:65], s[24:25], v[162:163]
	v_add_f64_e64 v[84:85], v[160:161], -v[84:85]
	v_add_f64_e32 v[34:35], v[38:39], v[34:35]
	v_add_f64_e32 v[32:33], v[36:37], v[32:33]
	v_fma_f64 v[190:191], v[70:71], s[28:29], v[40:41]
	v_fma_f64 v[192:193], v[74:75], s[12:13], v[42:43]
	;; [unrolled: 1-line block ×3, first 2 shown]
	v_fma_f64 v[42:43], v[74:75], s[12:13], -v[42:43]
	v_add_f64_e32 v[74:75], v[80:81], v[108:109]
	v_add_f64_e64 v[78:79], v[110:111], -v[78:79]
	v_mul_f64_e32 v[70:71], s[28:29], v[82:83]
	v_mul_f64_e32 v[80:81], s[34:35], v[82:83]
	v_fma_f64 v[82:83], v[54:55], s[0:1], v[128:129]
	v_fma_f64 v[108:109], v[54:55], s[16:17], v[128:129]
	;; [unrolled: 1-line block ×6, first 2 shown]
	v_add_f64_e32 v[178:179], v[22:23], v[178:179]
	v_add_f64_e32 v[44:45], v[22:23], v[44:45]
	;; [unrolled: 1-line block ×4, first 2 shown]
	v_mul_f64_e32 v[36:37], s[2:3], v[88:89]
	v_mul_f64_e32 v[38:39], s[18:19], v[100:101]
	;; [unrolled: 1-line block ×3, first 2 shown]
	v_add_f64_e32 v[30:31], v[34:35], v[30:31]
	v_add_f64_e32 v[28:29], v[32:33], v[28:29]
	v_fma_f64 v[32:33], v[68:69], s[22:23], v[146:147]
	v_fma_f64 v[34:35], v[68:69], s[34:35], v[146:147]
	;; [unrolled: 1-line block ×4, first 2 shown]
	v_add_f64_e32 v[40:41], v[22:23], v[40:41]
	v_add_f64_e32 v[42:43], v[20:21], v[42:43]
	;; [unrolled: 1-line block ×4, first 2 shown]
	v_fma_f64 v[74:75], v[52:53], s[24:25], -v[90:91]
	v_fma_f64 v[148:149], v[52:53], s[6:7], v[174:175]
	v_fma_f64 v[174:175], v[52:53], s[18:19], v[176:177]
	v_fma_f64 v[176:177], v[52:53], s[18:19], -v[176:177]
	v_fma_f64 v[90:91], v[52:53], s[24:25], v[90:91]
	v_add_f64_e32 v[192:193], v[20:21], v[192:193]
	v_fma_f64 v[52:53], v[52:53], s[20:21], v[154:155]
	v_add_f64_e32 v[20:21], v[20:21], v[78:79]
	v_add_f64_e32 v[110:111], v[110:111], v[178:179]
	v_mul_f64_e32 v[178:179], s[28:29], v[88:89]
	v_mul_f64_e32 v[88:89], s[26:27], v[88:89]
	v_fma_f64 v[78:79], v[54:55], s[30:31], v[132:133]
	v_fma_f64 v[132:133], v[54:55], s[2:3], v[132:133]
	;; [unrolled: 1-line block ×4, first 2 shown]
	v_add_f64_e32 v[44:45], v[128:129], v[44:45]
	v_add_f64_e32 v[46:47], v[152:153], v[46:47]
	;; [unrolled: 1-line block ×7, first 2 shown]
	v_fma_f64 v[28:29], v[54:55], s[22:23], v[140:141]
	v_fma_f64 v[30:31], v[54:55], s[34:35], v[140:141]
	;; [unrolled: 1-line block ×4, first 2 shown]
	v_fma_f64 v[80:81], v[92:93], s[24:25], -v[80:81]
	v_add_f64_e32 v[40:41], v[68:69], v[40:41]
	v_add_f64_e32 v[42:43], v[102:103], v[42:43]
	;; [unrolled: 1-line block ×3, first 2 shown]
	v_fma_f64 v[98:99], v[92:93], s[20:21], v[156:157]
	v_fma_f64 v[104:105], v[92:93], s[20:21], -v[156:157]
	v_fma_f64 v[156:157], v[92:93], s[12:13], v[70:71]
	v_fma_f64 v[70:71], v[92:93], s[12:13], -v[70:71]
	v_add_f64_e32 v[34:35], v[34:35], v[122:123]
	v_add_f64_e32 v[68:69], v[74:75], v[124:125]
	;; [unrolled: 1-line block ×11, first 2 shown]
	v_mul_f64_e32 v[92:93], s[24:25], v[58:59]
	v_mul_f64_e32 v[180:181], s[28:29], v[94:95]
	;; [unrolled: 1-line block ×3, first 2 shown]
	v_fma_f64 v[72:73], v[66:67], s[34:35], v[130:131]
	v_fma_f64 v[76:77], v[66:67], s[22:23], v[130:131]
	;; [unrolled: 1-line block ×6, first 2 shown]
	v_fma_f64 v[36:37], v[64:65], s[6:7], -v[36:37]
	v_fma_f64 v[134:135], v[64:65], s[12:13], v[178:179]
	v_fma_f64 v[144:145], v[64:65], s[18:19], v[88:89]
	v_add_f64_e32 v[82:83], v[82:83], v[110:111]
	v_add_f64_e32 v[18:19], v[26:27], v[18:19]
	;; [unrolled: 1-line block ×3, first 2 shown]
	v_fma_f64 v[24:25], v[66:67], s[10:11], v[126:127]
	v_fma_f64 v[26:27], v[66:67], s[28:29], v[126:127]
	;; [unrolled: 1-line block ×3, first 2 shown]
	v_fma_f64 v[126:127], v[64:65], s[24:25], -v[162:163]
	v_fma_f64 v[138:139], v[64:65], s[12:13], -v[178:179]
	;; [unrolled: 1-line block ×3, first 2 shown]
	v_add_f64_e32 v[30:31], v[30:31], v[40:41]
	v_add_f64_e32 v[40:41], v[80:81], v[42:43]
	v_add_f64_e32 v[44:45], v[108:109], v[44:45]
	v_add_f64_e32 v[46:47], v[104:105], v[46:47]
	v_add_f64_e32 v[78:79], v[78:79], v[128:129]
	v_add_f64_e32 v[104:105], v[132:133], v[118:119]
	v_add_f64_e32 v[34:35], v[136:137], v[34:35]
	v_add_f64_e32 v[42:43], v[70:71], v[68:69]
	v_add_f64_e32 v[108:109], v[150:151], v[120:121]
	v_add_f64_e32 v[88:89], v[98:99], v[148:149]
	v_add_f64_e32 v[98:99], v[140:141], v[142:143]
	v_add_f64_e32 v[32:33], v[154:155], v[32:33]
	v_add_f64_e32 v[68:69], v[156:157], v[74:75]
	v_add_f64_e32 v[28:29], v[28:29], v[90:91]
	v_add_f64_e32 v[52:53], v[158:159], v[52:53]
	v_add_f64_e32 v[22:23], v[54:55], v[22:23]
	v_add_f64_e32 v[20:21], v[96:97], v[20:21]
	v_fma_f64 v[54:55], v[58:59], s[18:19], -v[164:165]
	v_fma_f64 v[70:71], v[56:57], s[10:11], v[166:167]
	v_fma_f64 v[74:75], v[56:57], s[28:29], v[166:167]
	;; [unrolled: 1-line block ×5, first 2 shown]
	v_fma_f64 v[110:111], v[58:59], s[20:21], -v[170:171]
	v_fma_f64 v[118:119], v[56:57], s[2:3], v[172:173]
	v_add_f64_e64 v[60:61], v[92:93], -v[60:61]
	v_fma_f64 v[92:93], v[58:59], s[12:13], v[180:181]
	v_fma_f64 v[100:101], v[58:59], s[12:13], -v[180:181]
	v_fma_f64 v[120:121], v[58:59], s[6:7], v[94:95]
	v_add_f64_e32 v[14:15], v[18:19], v[14:15]
	v_add_f64_e32 v[12:13], v[16:17], v[12:13]
	v_fma_f64 v[16:17], v[56:57], s[26:27], v[38:39]
	v_fma_f64 v[18:19], v[58:59], s[18:19], v[164:165]
	;; [unrolled: 1-line block ×4, first 2 shown]
	v_fma_f64 v[58:59], v[58:59], s[6:7], -v[94:95]
	v_add_f64_e32 v[24:25], v[24:25], v[82:83]
	v_add_f64_e32 v[30:31], v[66:67], v[30:31]
	;; [unrolled: 1-line block ×25, first 2 shown]
	v_mul_u32_u24_e32 v44, 0xa0, v48
	v_add_f64_e32 v[22:23], v[74:75], v[76:77]
	v_add_f64_e32 v[26:27], v[96:97], v[34:35]
	;; [unrolled: 1-line block ×13, first 2 shown]
	v_add3_u32 v44, v116, v44, v117
	v_add_f64_e32 v[6:7], v[84:85], v[6:7]
	v_add_f64_e32 v[4:5], v[86:87], v[4:5]
	ds_store_b128 v44, v[28:31] offset:32
	ds_store_b128 v44, v[24:27] offset:48
	;; [unrolled: 1-line block ×9, first 2 shown]
	ds_store_b128 v44, v[4:7]
	ds_store_b128 v44, v[0:3] offset:160
.LBB0_12:
	s_or_b32 exec_lo, exec_lo, s33
	v_and_b32_e32 v4, 0xff, v48
	global_wb scope:SCOPE_SE
	s_wait_dscnt 0x0
	s_barrier_signal -1
	s_barrier_wait -1
	global_inv scope:SCOPE_SE
	v_mul_lo_u16 v4, 0x75, v4
	s_mov_b32 s2, 0x134454ff
	s_mov_b32 s3, 0x3fee6f0e
	;; [unrolled: 1-line block ×3, first 2 shown]
	s_wait_alu 0xfffe
	s_mov_b32 s0, s2
	v_lshrrev_b16 v4, 8, v4
	s_mov_b32 s10, 0x4755a5e
	s_mov_b32 s11, 0x3fe2cf23
	;; [unrolled: 1-line block ×3, first 2 shown]
	s_wait_alu 0xfffe
	s_mov_b32 s6, s10
	v_sub_nc_u16 v5, v48, v4
	s_mov_b32 s12, 0x372fe950
	s_mov_b32 s13, 0x3fd3c6ef
	;; [unrolled: 1-line block ×4, first 2 shown]
	v_lshrrev_b16 v5, 1, v5
	s_delay_alu instid0(VALU_DEP_1) | instskip(NEXT) | instid1(VALU_DEP_1)
	v_and_b32_e32 v5, 0x7f, v5
	v_add_nc_u16 v4, v5, v4
	s_delay_alu instid0(VALU_DEP_1) | instskip(NEXT) | instid1(VALU_DEP_1)
	v_lshrrev_b16 v8, 3, v4
	v_mul_lo_u16 v4, v8, 11
	v_and_b32_e32 v8, 0xffff, v8
	s_delay_alu instid0(VALU_DEP_2) | instskip(NEXT) | instid1(VALU_DEP_2)
	v_sub_nc_u16 v4, v48, v4
	v_mad_u32_u24 v8, 0x6e0, v8, 0
	s_delay_alu instid0(VALU_DEP_2) | instskip(NEXT) | instid1(VALU_DEP_1)
	v_and_b32_e32 v9, 0xff, v4
	v_mul_u32_u24_e32 v4, 9, v9
	v_lshlrev_b32_e32 v9, 4, v9
	s_delay_alu instid0(VALU_DEP_2) | instskip(NEXT) | instid1(VALU_DEP_2)
	v_lshlrev_b32_e32 v38, 4, v4
	v_add3_u32 v8, v8, v9, v117
	s_clause 0x8
	global_load_b128 v[4:7], v38, s[4:5] offset:32
	global_load_b128 v[10:13], v38, s[4:5] offset:64
	;; [unrolled: 1-line block ×4, first 2 shown]
	global_load_b128 v[22:25], v38, s[4:5]
	global_load_b128 v[26:29], v38, s[4:5] offset:16
	global_load_b128 v[30:33], v38, s[4:5] offset:48
	global_load_b128 v[34:37], v38, s[4:5] offset:80
	global_load_b128 v[38:41], v38, s[4:5] offset:112
	ds_load_b128 v[42:45], v49 offset:1584
	ds_load_b128 v[52:55], v49 offset:2640
	;; [unrolled: 1-line block ×6, first 2 shown]
	s_wait_loadcnt_dscnt 0x805
	v_mul_f64_e32 v[46:47], v[44:45], v[6:7]
	s_wait_loadcnt_dscnt 0x704
	v_mul_f64_e32 v[72:73], v[54:55], v[12:13]
	v_mul_f64_e32 v[12:13], v[52:53], v[12:13]
	s_wait_loadcnt_dscnt 0x603
	v_mul_f64_e32 v[74:75], v[56:57], v[16:17]
	s_wait_loadcnt_dscnt 0x502
	v_mul_f64_e32 v[76:77], v[60:61], v[20:21]
	v_mul_f64_e32 v[20:21], v[62:63], v[20:21]
	;; [unrolled: 1-line block ×4, first 2 shown]
	s_wait_loadcnt_dscnt 0x401
	v_mul_f64_e32 v[78:79], v[66:67], v[24:25]
	v_mul_f64_e32 v[24:25], v[64:65], v[24:25]
	v_fma_f64 v[42:43], v[42:43], v[4:5], -v[46:47]
	v_fma_f64 v[46:47], v[52:53], v[10:11], -v[72:73]
	v_fma_f64 v[52:53], v[54:55], v[10:11], v[12:13]
	v_fma_f64 v[54:55], v[58:59], v[14:15], v[74:75]
	;; [unrolled: 1-line block ×3, first 2 shown]
	v_fma_f64 v[18:19], v[60:61], v[18:19], -v[20:21]
	v_fma_f64 v[20:21], v[56:57], v[14:15], -v[16:17]
	v_fma_f64 v[44:45], v[44:45], v[4:5], v[6:7]
	ds_load_b128 v[4:7], v49 offset:2112
	ds_load_b128 v[10:13], v49 offset:3168
	;; [unrolled: 1-line block ×3, first 2 shown]
	s_wait_loadcnt_dscnt 0x303
	v_mul_f64_e32 v[56:57], v[70:71], v[28:29]
	v_mul_f64_e32 v[28:29], v[68:69], v[28:29]
	v_fma_f64 v[64:65], v[64:65], v[22:23], -v[78:79]
	v_fma_f64 v[22:23], v[66:67], v[22:23], v[24:25]
	s_wait_loadcnt_dscnt 0x202
	v_mul_f64_e32 v[60:61], v[6:7], v[32:33]
	v_mul_f64_e32 v[32:33], v[4:5], v[32:33]
	s_wait_loadcnt_dscnt 0x101
	v_mul_f64_e32 v[62:63], v[12:13], v[36:37]
	s_wait_loadcnt_dscnt 0x0
	v_mul_f64_e32 v[72:73], v[16:17], v[40:41]
	v_mul_f64_e32 v[36:37], v[10:11], v[36:37]
	;; [unrolled: 1-line block ×3, first 2 shown]
	v_add_f64_e64 v[78:79], v[46:47], -v[42:43]
	v_add_f64_e32 v[24:25], v[52:53], v[54:55]
	v_add_f64_e64 v[84:85], v[58:59], -v[54:55]
	v_add_f64_e32 v[74:75], v[42:43], v[18:19]
	v_add_f64_e32 v[76:77], v[46:47], v[20:21]
	;; [unrolled: 1-line block ×3, first 2 shown]
	v_add_f64_e64 v[80:81], v[20:21], -v[18:19]
	v_fma_f64 v[56:57], v[68:69], v[26:27], -v[56:57]
	v_fma_f64 v[26:27], v[70:71], v[26:27], v[28:29]
	v_add_f64_e64 v[82:83], v[44:45], -v[52:53]
	v_add_f64_e64 v[86:87], v[52:53], -v[44:45]
	;; [unrolled: 1-line block ×3, first 2 shown]
	v_fma_f64 v[28:29], v[4:5], v[30:31], -v[60:61]
	v_fma_f64 v[30:31], v[6:7], v[30:31], v[32:33]
	v_fma_f64 v[10:11], v[10:11], v[34:35], -v[62:63]
	v_fma_f64 v[14:15], v[14:15], v[38:39], -v[72:73]
	v_fma_f64 v[12:13], v[12:13], v[34:35], v[36:37]
	v_add_f64_e64 v[32:33], v[44:45], -v[58:59]
	v_add_f64_e64 v[36:37], v[42:43], -v[18:19]
	v_fma_f64 v[16:17], v[16:17], v[38:39], v[40:41]
	v_add_f64_e64 v[34:35], v[52:53], -v[54:55]
	v_add_f64_e64 v[38:39], v[46:47], -v[20:21]
	ds_load_b128 v[4:7], v112
	global_wb scope:SCOPE_SE
	s_wait_dscnt 0x0
	s_barrier_signal -1
	s_barrier_wait -1
	global_inv scope:SCOPE_SE
	v_fma_f64 v[24:25], v[24:25], -0.5, v[22:23]
	v_fma_f64 v[60:61], v[74:75], -0.5, v[64:65]
	;; [unrolled: 1-line block ×4, first 2 shown]
	v_add_f64_e64 v[74:75], v[42:43], -v[46:47]
	v_add_f64_e64 v[76:77], v[18:19], -v[20:21]
	v_add_f64_e32 v[42:43], v[64:65], v[42:43]
	v_add_f64_e32 v[22:23], v[22:23], v[44:45]
	;; [unrolled: 1-line block ×7, first 2 shown]
	v_add_f64_e64 v[102:103], v[30:31], -v[12:13]
	v_add_f64_e64 v[106:107], v[56:57], -v[14:15]
	v_add_f64_e32 v[72:73], v[26:27], v[16:17]
	v_add_f64_e64 v[100:101], v[26:27], -v[16:17]
	v_add_f64_e64 v[108:109], v[28:29], -v[10:11]
	v_fma_f64 v[90:91], v[36:37], s[0:1], v[24:25]
	v_fma_f64 v[24:25], v[36:37], s[2:3], v[24:25]
	;; [unrolled: 1-line block ×8, first 2 shown]
	v_add_f64_e32 v[42:43], v[42:43], v[46:47]
	v_add_f64_e32 v[22:23], v[22:23], v[52:53]
	v_fma_f64 v[44:45], v[66:67], -0.5, v[4:5]
	v_fma_f64 v[4:5], v[68:69], -0.5, v[4:5]
	;; [unrolled: 1-line block ×3, first 2 shown]
	v_add_f64_e32 v[66:67], v[74:75], v[76:77]
	v_add_f64_e32 v[68:69], v[78:79], v[80:81]
	;; [unrolled: 1-line block ×3, first 2 shown]
	v_fma_f64 v[6:7], v[72:73], -0.5, v[6:7]
	v_add_f64_e32 v[72:73], v[86:87], v[88:89]
	v_add_f64_e64 v[82:83], v[16:17], -v[12:13]
	v_add_f64_e64 v[84:85], v[12:13], -v[16:17]
	s_wait_alu 0xfffe
	v_fma_f64 v[74:75], v[38:39], s[6:7], v[90:91]
	v_fma_f64 v[24:25], v[38:39], s[10:11], v[24:25]
	v_fma_f64 v[78:79], v[32:33], s[6:7], v[94:95]
	v_fma_f64 v[80:81], v[34:35], s[6:7], v[96:97]
	v_fma_f64 v[34:35], v[34:35], s[10:11], v[62:63]
	v_fma_f64 v[76:77], v[36:37], s[6:7], v[92:93]
	v_fma_f64 v[32:33], v[32:33], s[10:11], v[60:61]
	v_fma_f64 v[36:37], v[36:37], s[10:11], v[40:41]
	v_add_f64_e64 v[38:39], v[56:57], -v[28:29]
	v_add_f64_e64 v[56:57], v[28:29], -v[56:57]
	v_add_f64_e64 v[62:63], v[26:27], -v[30:31]
	v_add_f64_e64 v[26:27], v[30:31], -v[26:27]
	v_add_f64_e32 v[28:29], v[98:99], v[28:29]
	v_add_f64_e32 v[30:31], v[104:105], v[30:31]
	v_add_f64_e64 v[40:41], v[14:15], -v[10:11]
	v_add_f64_e64 v[60:61], v[10:11], -v[14:15]
	v_add_f64_e32 v[20:21], v[42:43], v[20:21]
	v_add_f64_e32 v[22:23], v[22:23], v[54:55]
	v_fma_f64 v[46:47], v[100:101], s[2:3], v[44:45]
	v_fma_f64 v[44:45], v[100:101], s[0:1], v[44:45]
	;; [unrolled: 1-line block ×16, first 2 shown]
	v_add_f64_e32 v[26:27], v[26:27], v[84:85]
	v_add_f64_e32 v[10:11], v[28:29], v[10:11]
	;; [unrolled: 1-line block ×8, first 2 shown]
	v_fma_f64 v[28:29], v[102:103], s[10:11], v[46:47]
	v_fma_f64 v[30:31], v[102:103], s[6:7], v[44:45]
	;; [unrolled: 1-line block ×8, first 2 shown]
	v_mul_f64_e32 v[54:55], s[10:11], v[74:75]
	v_mul_f64_e32 v[72:73], s[14:15], v[24:25]
	;; [unrolled: 1-line block ×8, first 2 shown]
	v_add_f64_e32 v[14:15], v[10:11], v[14:15]
	v_add_f64_e32 v[16:17], v[12:13], v[16:17]
	v_fma_f64 v[58:59], v[38:39], s[12:13], v[28:29]
	v_fma_f64 v[82:83], v[38:39], s[12:13], v[30:31]
	;; [unrolled: 1-line block ×9, first 2 shown]
	v_fma_f64 v[36:37], v[36:37], s[2:3], -v[62:63]
	v_fma_f64 v[52:53], v[24:25], s[10:11], -v[64:65]
	v_fma_f64 v[54:55], v[74:75], s[14:15], v[66:67]
	v_fma_f64 v[42:43], v[32:33], s[12:13], v[60:61]
	;; [unrolled: 1-line block ×3, first 2 shown]
	v_fma_f64 v[60:61], v[78:79], s[0:1], -v[70:71]
	v_fma_f64 v[62:63], v[80:81], s[6:7], -v[72:73]
	v_cmp_gt_u32_e64 s0, 11, v48
	v_add_f64_e32 v[10:11], v[14:15], v[18:19]
	v_add_f64_e32 v[12:13], v[16:17], v[20:21]
	v_add_f64_e64 v[14:15], v[14:15], -v[18:19]
	v_add_f64_e64 v[16:17], v[16:17], -v[20:21]
	v_add_f64_e32 v[18:19], v[58:59], v[34:35]
	v_add_f64_e64 v[34:35], v[58:59], -v[34:35]
	v_add_f64_e32 v[26:27], v[4:5], v[36:37]
	v_add_f64_e32 v[30:31], v[82:83], v[52:53]
	;; [unrolled: 1-line block ×7, first 2 shown]
	v_add_f64_e64 v[38:39], v[38:39], -v[42:43]
	v_add_f64_e64 v[42:43], v[4:5], -v[36:37]
	;; [unrolled: 1-line block ×7, first 2 shown]
	ds_store_b128 v8, v[10:13]
	ds_store_b128 v8, v[18:21] offset:176
	ds_store_b128 v8, v[22:25] offset:352
	;; [unrolled: 1-line block ×9, first 2 shown]
	global_wb scope:SCOPE_SE
	s_wait_dscnt 0x0
	s_barrier_signal -1
	s_barrier_wait -1
	global_inv scope:SCOPE_SE
	ds_load_b128 v[20:23], v112
	ds_load_b128 v[12:15], v49 offset:528
	ds_load_b128 v[36:39], v49 offset:3520
	ds_load_b128 v[24:27], v49 offset:4048
	ds_load_b128 v[44:47], v49 offset:1760
	ds_load_b128 v[16:19], v49 offset:1056
	ds_load_b128 v[40:43], v49 offset:2288
	ds_load_b128 v[28:31], v49 offset:2816
	ds_load_b128 v[32:35], v49 offset:4576
                                        ; implicit-def: $vgpr10_vgpr11
	s_and_saveexec_b32 s1, s0
	s_cbranch_execz .LBB0_14
; %bb.13:
	ds_load_b128 v[4:7], v49 offset:1584
	ds_load_b128 v[0:3], v49 offset:3344
	;; [unrolled: 1-line block ×3, first 2 shown]
.LBB0_14:
	s_wait_alu 0xfffe
	s_or_b32 exec_lo, exec_lo, s1
	v_dual_mov_b32 v53, 0 :: v_dual_lshlrev_b32 v52, 1, v48
	s_mov_b32 s2, 0xe8584caa
	s_mov_b32 s3, 0x3febb67a
	;; [unrolled: 1-line block ×3, first 2 shown]
	s_delay_alu instid0(VALU_DEP_1)
	v_dual_mov_b32 v57, v53 :: v_dual_add_nc_u32 v56, 0x42, v52
	v_lshlrev_b64_e32 v[54:55], 4, v[52:53]
	v_add_nc_u32_e32 v52, 0x84, v52
	s_wait_alu 0xfffe
	s_mov_b32 s6, s2
	v_lshlrev_b64_e32 v[62:63], 4, v[56:57]
	s_delay_alu instid0(VALU_DEP_3) | instskip(SKIP_3) | instid1(VALU_DEP_4)
	v_add_co_u32 v58, s1, s4, v54
	v_lshlrev_b64_e32 v[64:65], 4, v[52:53]
	s_wait_alu 0xf1ff
	v_add_co_ci_u32_e64 v59, s1, s5, v55, s1
	v_add_co_u32 v66, s1, s4, v62
	s_wait_alu 0xf1ff
	v_add_co_ci_u32_e64 v67, s1, s5, v63, s1
	s_clause 0x1
	global_load_b128 v[54:57], v[58:59], off offset:1600
	global_load_b128 v[58:61], v[58:59], off offset:1584
	v_add_co_u32 v74, s1, s4, v64
	s_wait_alu 0xf1ff
	v_add_co_ci_u32_e64 v75, s1, s5, v65, s1
	s_clause 0x3
	global_load_b128 v[62:65], v[66:67], off offset:1584
	global_load_b128 v[66:69], v[66:67], off offset:1600
	;; [unrolled: 1-line block ×4, first 2 shown]
	v_lshl_add_u32 v52, v114, 4, v116
	global_wb scope:SCOPE_SE
	s_wait_loadcnt_dscnt 0x0
	s_barrier_signal -1
	s_barrier_wait -1
	global_inv scope:SCOPE_SE
	v_mul_f64_e32 v[80:81], v[38:39], v[56:57]
	v_mul_f64_e32 v[78:79], v[46:47], v[60:61]
	;; [unrolled: 1-line block ×12, first 2 shown]
	v_fma_f64 v[36:37], v[36:37], v[54:55], -v[80:81]
	v_fma_f64 v[44:45], v[44:45], v[58:59], -v[78:79]
	v_fma_f64 v[46:47], v[46:47], v[58:59], v[60:61]
	v_fma_f64 v[38:39], v[38:39], v[54:55], v[56:57]
	v_fma_f64 v[40:41], v[40:41], v[62:63], -v[82:83]
	v_fma_f64 v[24:25], v[24:25], v[66:67], -v[84:85]
	v_fma_f64 v[42:43], v[42:43], v[62:63], v[64:65]
	v_fma_f64 v[26:27], v[26:27], v[66:67], v[68:69]
	;; [unrolled: 4-line block ×3, first 2 shown]
	v_add_f64_e32 v[54:55], v[44:45], v[36:37]
	v_add_f64_e32 v[66:67], v[20:21], v[44:45]
	;; [unrolled: 1-line block ×3, first 2 shown]
	v_add_f64_e64 v[68:69], v[46:47], -v[38:39]
	v_add_f64_e32 v[58:59], v[40:41], v[24:25]
	v_add_f64_e32 v[46:47], v[22:23], v[46:47]
	;; [unrolled: 1-line block ×7, first 2 shown]
	v_add_f64_e64 v[44:45], v[44:45], -v[36:37]
	v_add_f64_e32 v[74:75], v[16:17], v[28:29]
	v_add_f64_e32 v[76:77], v[18:19], v[30:31]
	v_add_f64_e64 v[42:43], v[42:43], -v[26:27]
	v_add_f64_e64 v[40:41], v[40:41], -v[24:25]
	;; [unrolled: 1-line block ×4, first 2 shown]
	v_fma_f64 v[54:55], v[54:55], -0.5, v[20:21]
	v_fma_f64 v[56:57], v[56:57], -0.5, v[22:23]
	;; [unrolled: 1-line block ×3, first 2 shown]
	v_add_f64_e32 v[12:13], v[66:67], v[36:37]
	v_fma_f64 v[60:61], v[60:61], -0.5, v[14:15]
	v_add_f64_e32 v[14:15], v[46:47], v[38:39]
	v_fma_f64 v[62:63], v[62:63], -0.5, v[16:17]
	;; [unrolled: 2-line block ×3, first 2 shown]
	v_add_f64_e32 v[18:19], v[72:73], v[26:27]
	v_add_f64_e32 v[20:21], v[74:75], v[32:33]
	;; [unrolled: 1-line block ×3, first 2 shown]
	v_fma_f64 v[24:25], v[68:69], s[2:3], v[54:55]
	s_wait_alu 0xfffe
	v_fma_f64 v[28:29], v[68:69], s[6:7], v[54:55]
	v_fma_f64 v[26:27], v[44:45], s[6:7], v[56:57]
	v_fma_f64 v[30:31], v[44:45], s[2:3], v[56:57]
	v_fma_f64 v[32:33], v[42:43], s[2:3], v[58:59]
	v_fma_f64 v[36:37], v[42:43], s[6:7], v[58:59]
	v_fma_f64 v[34:35], v[40:41], s[6:7], v[60:61]
	v_fma_f64 v[38:39], v[40:41], s[2:3], v[60:61]
	v_fma_f64 v[40:41], v[78:79], s[2:3], v[62:63]
	v_fma_f64 v[44:45], v[78:79], s[6:7], v[62:63]
	v_fma_f64 v[42:43], v[80:81], s[6:7], v[64:65]
	v_fma_f64 v[46:47], v[80:81], s[2:3], v[64:65]
	ds_store_b128 v49, v[12:15]
	ds_store_b128 v49, v[16:19] offset:528
	ds_store_b128 v49, v[24:27] offset:1760
	;; [unrolled: 1-line block ×8, first 2 shown]
	s_and_saveexec_b32 s1, s0
	s_cbranch_execz .LBB0_16
; %bb.15:
	v_cndmask_b32_e64 v12, -11, 0x63, s0
	s_delay_alu instid0(VALU_DEP_1) | instskip(NEXT) | instid1(VALU_DEP_1)
	v_add_lshl_u32 v52, v48, v12, 1
	v_lshlrev_b64_e32 v[12:13], 4, v[52:53]
	s_delay_alu instid0(VALU_DEP_1) | instskip(SKIP_1) | instid1(VALU_DEP_2)
	v_add_co_u32 v16, s0, s4, v12
	s_wait_alu 0xf1ff
	v_add_co_ci_u32_e64 v17, s0, s5, v13, s0
	s_clause 0x1
	global_load_b128 v[12:15], v[16:17], off offset:1584
	global_load_b128 v[16:19], v[16:17], off offset:1600
	s_wait_loadcnt 0x1
	v_mul_f64_e32 v[20:21], v[0:1], v[14:15]
	s_wait_loadcnt 0x0
	v_mul_f64_e32 v[22:23], v[8:9], v[18:19]
	v_mul_f64_e32 v[14:15], v[2:3], v[14:15]
	;; [unrolled: 1-line block ×3, first 2 shown]
	s_delay_alu instid0(VALU_DEP_4) | instskip(NEXT) | instid1(VALU_DEP_4)
	v_fma_f64 v[2:3], v[2:3], v[12:13], v[20:21]
	v_fma_f64 v[10:11], v[10:11], v[16:17], v[22:23]
	s_delay_alu instid0(VALU_DEP_4) | instskip(NEXT) | instid1(VALU_DEP_4)
	v_fma_f64 v[0:1], v[0:1], v[12:13], -v[14:15]
	v_fma_f64 v[8:9], v[8:9], v[16:17], -v[18:19]
	s_delay_alu instid0(VALU_DEP_4) | instskip(NEXT) | instid1(VALU_DEP_4)
	v_add_f64_e32 v[18:19], v[6:7], v[2:3]
	v_add_f64_e32 v[12:13], v[2:3], v[10:11]
	v_add_f64_e64 v[20:21], v[2:3], -v[10:11]
	s_delay_alu instid0(VALU_DEP_4)
	v_add_f64_e32 v[14:15], v[0:1], v[8:9]
	v_add_f64_e64 v[16:17], v[0:1], -v[8:9]
	v_add_f64_e32 v[0:1], v[4:5], v[0:1]
	v_add_f64_e32 v[2:3], v[18:19], v[10:11]
	v_fma_f64 v[12:13], v[12:13], -0.5, v[6:7]
	v_fma_f64 v[4:5], v[14:15], -0.5, v[4:5]
	s_delay_alu instid0(VALU_DEP_4) | instskip(NEXT) | instid1(VALU_DEP_3)
	v_add_f64_e32 v[0:1], v[0:1], v[8:9]
	v_fma_f64 v[10:11], v[16:17], s[6:7], v[12:13]
	v_fma_f64 v[6:7], v[16:17], s[2:3], v[12:13]
	s_delay_alu instid0(VALU_DEP_4)
	v_fma_f64 v[8:9], v[20:21], s[2:3], v[4:5]
	v_fma_f64 v[4:5], v[20:21], s[6:7], v[4:5]
	ds_store_b128 v49, v[0:3] offset:1584
	ds_store_b128 v49, v[8:11] offset:3344
	;; [unrolled: 1-line block ×3, first 2 shown]
.LBB0_16:
	s_wait_alu 0xfffe
	s_or_b32 exec_lo, exec_lo, s1
	global_wb scope:SCOPE_SE
	s_wait_dscnt 0x0
	s_barrier_signal -1
	s_barrier_wait -1
	global_inv scope:SCOPE_SE
	ds_load_b128 v[4:7], v112
	v_sub_nc_u32_e32 v14, v115, v113
	s_mov_b32 s1, exec_lo
                                        ; implicit-def: $vgpr0_vgpr1
                                        ; implicit-def: $vgpr8_vgpr9
                                        ; implicit-def: $vgpr10_vgpr11
                                        ; implicit-def: $vgpr12_vgpr13
	v_cmpx_ne_u32_e32 0, v48
	s_wait_alu 0xfffe
	s_xor_b32 s1, exec_lo, s1
	s_cbranch_execz .LBB0_18
; %bb.17:
	v_mov_b32_e32 v49, 0
                                        ; implicit-def: $vgpr115
	s_delay_alu instid0(VALU_DEP_1) | instskip(NEXT) | instid1(VALU_DEP_1)
	v_lshlrev_b64_e32 v[0:1], 4, v[48:49]
	v_add_co_u32 v0, s0, s4, v0
	s_wait_alu 0xf1ff
	s_delay_alu instid0(VALU_DEP_2)
	v_add_co_ci_u32_e64 v1, s0, s5, v1, s0
	global_load_b128 v[15:18], v[0:1], off offset:5104
	ds_load_b128 v[0:3], v14 offset:5280
	s_wait_dscnt 0x0
	v_add_f64_e64 v[8:9], v[4:5], -v[0:1]
	v_add_f64_e32 v[10:11], v[6:7], v[2:3]
	v_add_f64_e64 v[2:3], v[6:7], -v[2:3]
	v_add_f64_e32 v[0:1], v[4:5], v[0:1]
	s_delay_alu instid0(VALU_DEP_4) | instskip(NEXT) | instid1(VALU_DEP_4)
	v_mul_f64_e32 v[6:7], 0.5, v[8:9]
	v_mul_f64_e32 v[4:5], 0.5, v[10:11]
	s_delay_alu instid0(VALU_DEP_4) | instskip(SKIP_1) | instid1(VALU_DEP_3)
	v_mul_f64_e32 v[2:3], 0.5, v[2:3]
	s_wait_loadcnt 0x0
	v_mul_f64_e32 v[8:9], v[6:7], v[17:18]
	s_delay_alu instid0(VALU_DEP_2) | instskip(SKIP_1) | instid1(VALU_DEP_3)
	v_fma_f64 v[10:11], v[4:5], v[17:18], v[2:3]
	v_fma_f64 v[2:3], v[4:5], v[17:18], -v[2:3]
	v_fma_f64 v[12:13], v[0:1], 0.5, v[8:9]
	v_fma_f64 v[0:1], v[0:1], 0.5, -v[8:9]
	s_delay_alu instid0(VALU_DEP_4) | instskip(NEXT) | instid1(VALU_DEP_4)
	v_fma_f64 v[10:11], -v[15:16], v[6:7], v[10:11]
	v_fma_f64 v[2:3], -v[15:16], v[6:7], v[2:3]
	s_delay_alu instid0(VALU_DEP_4) | instskip(NEXT) | instid1(VALU_DEP_4)
	v_fma_f64 v[8:9], v[4:5], v[15:16], v[12:13]
	v_fma_f64 v[0:1], -v[4:5], v[15:16], v[0:1]
	v_dual_mov_b32 v12, v48 :: v_dual_mov_b32 v13, v49
                                        ; implicit-def: $vgpr4_vgpr5
.LBB0_18:
	s_wait_alu 0xfffe
	s_and_not1_saveexec_b32 s0, s1
	s_cbranch_execz .LBB0_20
; %bb.19:
	s_wait_dscnt 0x0
	v_add_f64_e32 v[8:9], v[4:5], v[6:7]
	v_add_f64_e64 v[0:1], v[4:5], -v[6:7]
	ds_load_b64 v[4:5], v115 offset:2648
	v_mov_b32_e32 v10, 0
	v_dual_mov_b32 v11, 0 :: v_dual_mov_b32 v12, 0
	s_delay_alu instid0(VALU_DEP_2) | instskip(NEXT) | instid1(VALU_DEP_2)
	v_dual_mov_b32 v13, 0 :: v_dual_mov_b32 v2, v10
	v_mov_b32_e32 v3, v11
	s_wait_dscnt 0x0
	v_xor_b32_e32 v5, 0x80000000, v5
	ds_store_b64 v115, v[4:5] offset:2648
.LBB0_20:
	s_wait_alu 0xfffe
	s_or_b32 exec_lo, exec_lo, s0
	s_wait_dscnt 0x0
	v_lshlrev_b64_e32 v[4:5], 4, v[12:13]
	s_add_nc_u64 s[0:1], s[4:5], 0x13f0
	s_wait_alu 0xfffe
	s_delay_alu instid0(VALU_DEP_1) | instskip(SKIP_1) | instid1(VALU_DEP_2)
	v_add_co_u32 v23, s0, s0, v4
	s_wait_alu 0xf1ff
	v_add_co_ci_u32_e64 v24, s0, s1, v5, s0
	s_clause 0x1
	global_load_b128 v[15:18], v[23:24], off offset:528
	global_load_b128 v[19:22], v[23:24], off offset:1056
	ds_store_2addr_b64 v112, v[8:9], v[10:11] offset1:1
	ds_store_b128 v14, v[0:3] offset:5280
	ds_load_b128 v[0:3], v112 offset:528
	ds_load_b128 v[6:9], v14 offset:4752
	s_wait_dscnt 0x0
	v_add_f64_e64 v[10:11], v[0:1], -v[6:7]
	v_add_f64_e32 v[12:13], v[2:3], v[8:9]
	v_add_f64_e64 v[2:3], v[2:3], -v[8:9]
	v_add_f64_e32 v[0:1], v[0:1], v[6:7]
	s_delay_alu instid0(VALU_DEP_4) | instskip(NEXT) | instid1(VALU_DEP_4)
	v_mul_f64_e32 v[8:9], 0.5, v[10:11]
	v_mul_f64_e32 v[10:11], 0.5, v[12:13]
	s_delay_alu instid0(VALU_DEP_4) | instskip(SKIP_1) | instid1(VALU_DEP_3)
	v_mul_f64_e32 v[2:3], 0.5, v[2:3]
	s_wait_loadcnt 0x1
	v_mul_f64_e32 v[6:7], v[8:9], v[17:18]
	s_delay_alu instid0(VALU_DEP_2) | instskip(SKIP_1) | instid1(VALU_DEP_3)
	v_fma_f64 v[12:13], v[10:11], v[17:18], v[2:3]
	v_fma_f64 v[2:3], v[10:11], v[17:18], -v[2:3]
	v_fma_f64 v[17:18], v[0:1], 0.5, v[6:7]
	v_fma_f64 v[0:1], v[0:1], 0.5, -v[6:7]
	s_delay_alu instid0(VALU_DEP_4) | instskip(NEXT) | instid1(VALU_DEP_4)
	v_fma_f64 v[12:13], -v[15:16], v[8:9], v[12:13]
	v_fma_f64 v[2:3], -v[15:16], v[8:9], v[2:3]
	global_load_b128 v[6:9], v[23:24], off offset:1584
	v_fma_f64 v[17:18], v[10:11], v[15:16], v[17:18]
	v_fma_f64 v[0:1], -v[10:11], v[15:16], v[0:1]
	ds_store_2addr_b64 v112, v[17:18], v[12:13] offset0:66 offset1:67
	ds_store_b128 v14, v[0:3] offset:4752
	ds_load_b128 v[0:3], v112 offset:1056
	ds_load_b128 v[10:13], v14 offset:4224
	s_wait_dscnt 0x0
	v_add_f64_e64 v[15:16], v[0:1], -v[10:11]
	v_add_f64_e32 v[17:18], v[2:3], v[12:13]
	v_add_f64_e64 v[2:3], v[2:3], -v[12:13]
	v_add_f64_e32 v[0:1], v[0:1], v[10:11]
	s_delay_alu instid0(VALU_DEP_4) | instskip(NEXT) | instid1(VALU_DEP_4)
	v_mul_f64_e32 v[12:13], 0.5, v[15:16]
	v_mul_f64_e32 v[15:16], 0.5, v[17:18]
	s_delay_alu instid0(VALU_DEP_4) | instskip(SKIP_1) | instid1(VALU_DEP_3)
	v_mul_f64_e32 v[2:3], 0.5, v[2:3]
	s_wait_loadcnt 0x1
	v_mul_f64_e32 v[10:11], v[12:13], v[21:22]
	s_delay_alu instid0(VALU_DEP_2) | instskip(SKIP_1) | instid1(VALU_DEP_3)
	v_fma_f64 v[17:18], v[15:16], v[21:22], v[2:3]
	v_fma_f64 v[2:3], v[15:16], v[21:22], -v[2:3]
	v_fma_f64 v[21:22], v[0:1], 0.5, v[10:11]
	v_fma_f64 v[0:1], v[0:1], 0.5, -v[10:11]
	s_delay_alu instid0(VALU_DEP_4) | instskip(NEXT) | instid1(VALU_DEP_4)
	v_fma_f64 v[17:18], -v[19:20], v[12:13], v[17:18]
	v_fma_f64 v[2:3], -v[19:20], v[12:13], v[2:3]
	global_load_b128 v[10:13], v[23:24], off offset:2112
	v_fma_f64 v[21:22], v[15:16], v[19:20], v[21:22]
	v_fma_f64 v[0:1], -v[15:16], v[19:20], v[0:1]
	ds_store_2addr_b64 v112, v[21:22], v[17:18] offset0:132 offset1:133
	ds_store_b128 v14, v[0:3] offset:4224
	ds_load_b128 v[0:3], v112 offset:1584
	ds_load_b128 v[15:18], v14 offset:3696
	s_wait_dscnt 0x0
	v_add_f64_e64 v[19:20], v[0:1], -v[15:16]
	v_add_f64_e32 v[21:22], v[2:3], v[17:18]
	v_add_f64_e64 v[2:3], v[2:3], -v[17:18]
	v_add_f64_e32 v[0:1], v[0:1], v[15:16]
	s_delay_alu instid0(VALU_DEP_4) | instskip(NEXT) | instid1(VALU_DEP_4)
	v_mul_f64_e32 v[17:18], 0.5, v[19:20]
	v_mul_f64_e32 v[19:20], 0.5, v[21:22]
	s_delay_alu instid0(VALU_DEP_4) | instskip(SKIP_1) | instid1(VALU_DEP_3)
	v_mul_f64_e32 v[2:3], 0.5, v[2:3]
	s_wait_loadcnt 0x1
	v_mul_f64_e32 v[15:16], v[17:18], v[8:9]
	s_delay_alu instid0(VALU_DEP_2) | instskip(SKIP_1) | instid1(VALU_DEP_3)
	v_fma_f64 v[21:22], v[19:20], v[8:9], v[2:3]
	v_fma_f64 v[2:3], v[19:20], v[8:9], -v[2:3]
	v_fma_f64 v[8:9], v[0:1], 0.5, v[15:16]
	v_fma_f64 v[0:1], v[0:1], 0.5, -v[15:16]
	s_delay_alu instid0(VALU_DEP_4) | instskip(NEXT) | instid1(VALU_DEP_4)
	v_fma_f64 v[15:16], -v[6:7], v[17:18], v[21:22]
	v_fma_f64 v[2:3], -v[6:7], v[17:18], v[2:3]
	s_delay_alu instid0(VALU_DEP_4) | instskip(NEXT) | instid1(VALU_DEP_4)
	v_fma_f64 v[8:9], v[19:20], v[6:7], v[8:9]
	v_fma_f64 v[0:1], -v[19:20], v[6:7], v[0:1]
	ds_store_2addr_b64 v112, v[8:9], v[15:16] offset0:198 offset1:199
	ds_store_b128 v14, v[0:3] offset:3696
	ds_load_b128 v[0:3], v112 offset:2112
	ds_load_b128 v[6:9], v14 offset:3168
	s_wait_dscnt 0x0
	v_add_f64_e64 v[15:16], v[0:1], -v[6:7]
	v_add_f64_e32 v[17:18], v[2:3], v[8:9]
	v_add_f64_e64 v[2:3], v[2:3], -v[8:9]
	v_add_f64_e32 v[0:1], v[0:1], v[6:7]
	s_delay_alu instid0(VALU_DEP_4) | instskip(NEXT) | instid1(VALU_DEP_4)
	v_mul_f64_e32 v[8:9], 0.5, v[15:16]
	v_mul_f64_e32 v[15:16], 0.5, v[17:18]
	s_delay_alu instid0(VALU_DEP_4) | instskip(SKIP_1) | instid1(VALU_DEP_3)
	v_mul_f64_e32 v[2:3], 0.5, v[2:3]
	s_wait_loadcnt 0x0
	v_mul_f64_e32 v[6:7], v[8:9], v[12:13]
	s_delay_alu instid0(VALU_DEP_2) | instskip(SKIP_1) | instid1(VALU_DEP_3)
	v_fma_f64 v[17:18], v[15:16], v[12:13], v[2:3]
	v_fma_f64 v[2:3], v[15:16], v[12:13], -v[2:3]
	v_fma_f64 v[12:13], v[0:1], 0.5, v[6:7]
	v_fma_f64 v[0:1], v[0:1], 0.5, -v[6:7]
	s_delay_alu instid0(VALU_DEP_4) | instskip(NEXT) | instid1(VALU_DEP_4)
	v_fma_f64 v[6:7], -v[10:11], v[8:9], v[17:18]
	v_fma_f64 v[2:3], -v[10:11], v[8:9], v[2:3]
	s_delay_alu instid0(VALU_DEP_4) | instskip(NEXT) | instid1(VALU_DEP_4)
	v_fma_f64 v[8:9], v[15:16], v[10:11], v[12:13]
	v_fma_f64 v[0:1], -v[15:16], v[10:11], v[0:1]
	v_add_nc_u32_e32 v10, 0x800, v112
	ds_store_2addr_b64 v10, v[8:9], v[6:7] offset0:8 offset1:9
	ds_store_b128 v14, v[0:3] offset:3168
	global_wb scope:SCOPE_SE
	s_wait_dscnt 0x0
	s_barrier_signal -1
	s_barrier_wait -1
	global_inv scope:SCOPE_SE
	s_and_saveexec_b32 s0, vcc_lo
	s_cbranch_execz .LBB0_23
; %bb.21:
	ds_load_b128 v[6:9], v112
	ds_load_b128 v[10:13], v112 offset:528
	ds_load_b128 v[14:17], v112 offset:1056
	;; [unrolled: 1-line block ×9, first 2 shown]
	v_add_co_u32 v0, vcc_lo, s8, v50
	s_wait_alu 0xfffd
	v_add_co_ci_u32_e32 v1, vcc_lo, s9, v51, vcc_lo
	s_delay_alu instid0(VALU_DEP_2) | instskip(SKIP_1) | instid1(VALU_DEP_2)
	v_add_co_u32 v2, vcc_lo, v0, v4
	s_wait_alu 0xfffd
	v_add_co_ci_u32_e32 v3, vcc_lo, v1, v5, vcc_lo
	v_cmp_eq_u32_e32 vcc_lo, 32, v48
	s_wait_dscnt 0x9
	global_store_b128 v[2:3], v[6:9], off
	s_wait_dscnt 0x8
	global_store_b128 v[2:3], v[10:13], off offset:528
	s_wait_dscnt 0x7
	global_store_b128 v[2:3], v[14:17], off offset:1056
	;; [unrolled: 2-line block ×9, first 2 shown]
	s_and_b32 exec_lo, exec_lo, vcc_lo
	s_cbranch_execz .LBB0_23
; %bb.22:
	ds_load_b128 v[2:5], v112 offset:4768
	s_wait_dscnt 0x0
	global_store_b128 v[0:1], v[2:5], off offset:5280
.LBB0_23:
	s_nop 0
	s_sendmsg sendmsg(MSG_DEALLOC_VGPRS)
	s_endpgm
	.section	.rodata,"a",@progbits
	.p2align	6, 0x0
	.amdhsa_kernel fft_rtc_fwd_len330_factors_11_10_3_wgs_99_tpt_33_dp_ip_CI_unitstride_sbrr_R2C_dirReg
		.amdhsa_group_segment_fixed_size 0
		.amdhsa_private_segment_fixed_size 0
		.amdhsa_kernarg_size 88
		.amdhsa_user_sgpr_count 2
		.amdhsa_user_sgpr_dispatch_ptr 0
		.amdhsa_user_sgpr_queue_ptr 0
		.amdhsa_user_sgpr_kernarg_segment_ptr 1
		.amdhsa_user_sgpr_dispatch_id 0
		.amdhsa_user_sgpr_private_segment_size 0
		.amdhsa_wavefront_size32 1
		.amdhsa_uses_dynamic_stack 0
		.amdhsa_enable_private_segment 0
		.amdhsa_system_sgpr_workgroup_id_x 1
		.amdhsa_system_sgpr_workgroup_id_y 0
		.amdhsa_system_sgpr_workgroup_id_z 0
		.amdhsa_system_sgpr_workgroup_info 0
		.amdhsa_system_vgpr_workitem_id 0
		.amdhsa_next_free_vgpr 194
		.amdhsa_next_free_sgpr 36
		.amdhsa_reserve_vcc 1
		.amdhsa_float_round_mode_32 0
		.amdhsa_float_round_mode_16_64 0
		.amdhsa_float_denorm_mode_32 3
		.amdhsa_float_denorm_mode_16_64 3
		.amdhsa_fp16_overflow 0
		.amdhsa_workgroup_processor_mode 1
		.amdhsa_memory_ordered 1
		.amdhsa_forward_progress 0
		.amdhsa_round_robin_scheduling 0
		.amdhsa_exception_fp_ieee_invalid_op 0
		.amdhsa_exception_fp_denorm_src 0
		.amdhsa_exception_fp_ieee_div_zero 0
		.amdhsa_exception_fp_ieee_overflow 0
		.amdhsa_exception_fp_ieee_underflow 0
		.amdhsa_exception_fp_ieee_inexact 0
		.amdhsa_exception_int_div_zero 0
	.end_amdhsa_kernel
	.text
.Lfunc_end0:
	.size	fft_rtc_fwd_len330_factors_11_10_3_wgs_99_tpt_33_dp_ip_CI_unitstride_sbrr_R2C_dirReg, .Lfunc_end0-fft_rtc_fwd_len330_factors_11_10_3_wgs_99_tpt_33_dp_ip_CI_unitstride_sbrr_R2C_dirReg
                                        ; -- End function
	.section	.AMDGPU.csdata,"",@progbits
; Kernel info:
; codeLenInByte = 8352
; NumSgprs: 38
; NumVgprs: 194
; ScratchSize: 0
; MemoryBound: 0
; FloatMode: 240
; IeeeMode: 1
; LDSByteSize: 0 bytes/workgroup (compile time only)
; SGPRBlocks: 4
; VGPRBlocks: 24
; NumSGPRsForWavesPerEU: 38
; NumVGPRsForWavesPerEU: 194
; Occupancy: 7
; WaveLimiterHint : 1
; COMPUTE_PGM_RSRC2:SCRATCH_EN: 0
; COMPUTE_PGM_RSRC2:USER_SGPR: 2
; COMPUTE_PGM_RSRC2:TRAP_HANDLER: 0
; COMPUTE_PGM_RSRC2:TGID_X_EN: 1
; COMPUTE_PGM_RSRC2:TGID_Y_EN: 0
; COMPUTE_PGM_RSRC2:TGID_Z_EN: 0
; COMPUTE_PGM_RSRC2:TIDIG_COMP_CNT: 0
	.text
	.p2alignl 7, 3214868480
	.fill 96, 4, 3214868480
	.type	__hip_cuid_1e5961b4cd564a52,@object ; @__hip_cuid_1e5961b4cd564a52
	.section	.bss,"aw",@nobits
	.globl	__hip_cuid_1e5961b4cd564a52
__hip_cuid_1e5961b4cd564a52:
	.byte	0                               ; 0x0
	.size	__hip_cuid_1e5961b4cd564a52, 1

	.ident	"AMD clang version 19.0.0git (https://github.com/RadeonOpenCompute/llvm-project roc-6.4.0 25133 c7fe45cf4b819c5991fe208aaa96edf142730f1d)"
	.section	".note.GNU-stack","",@progbits
	.addrsig
	.addrsig_sym __hip_cuid_1e5961b4cd564a52
	.amdgpu_metadata
---
amdhsa.kernels:
  - .args:
      - .actual_access:  read_only
        .address_space:  global
        .offset:         0
        .size:           8
        .value_kind:     global_buffer
      - .offset:         8
        .size:           8
        .value_kind:     by_value
      - .actual_access:  read_only
        .address_space:  global
        .offset:         16
        .size:           8
        .value_kind:     global_buffer
      - .actual_access:  read_only
        .address_space:  global
        .offset:         24
        .size:           8
        .value_kind:     global_buffer
      - .offset:         32
        .size:           8
        .value_kind:     by_value
      - .actual_access:  read_only
        .address_space:  global
        .offset:         40
        .size:           8
        .value_kind:     global_buffer
      - .actual_access:  read_only
        .address_space:  global
        .offset:         48
        .size:           8
        .value_kind:     global_buffer
      - .offset:         56
        .size:           4
        .value_kind:     by_value
      - .actual_access:  read_only
        .address_space:  global
        .offset:         64
        .size:           8
        .value_kind:     global_buffer
      - .actual_access:  read_only
        .address_space:  global
        .offset:         72
        .size:           8
        .value_kind:     global_buffer
      - .address_space:  global
        .offset:         80
        .size:           8
        .value_kind:     global_buffer
    .group_segment_fixed_size: 0
    .kernarg_segment_align: 8
    .kernarg_segment_size: 88
    .language:       OpenCL C
    .language_version:
      - 2
      - 0
    .max_flat_workgroup_size: 99
    .name:           fft_rtc_fwd_len330_factors_11_10_3_wgs_99_tpt_33_dp_ip_CI_unitstride_sbrr_R2C_dirReg
    .private_segment_fixed_size: 0
    .sgpr_count:     38
    .sgpr_spill_count: 0
    .symbol:         fft_rtc_fwd_len330_factors_11_10_3_wgs_99_tpt_33_dp_ip_CI_unitstride_sbrr_R2C_dirReg.kd
    .uniform_work_group_size: 1
    .uses_dynamic_stack: false
    .vgpr_count:     194
    .vgpr_spill_count: 0
    .wavefront_size: 32
    .workgroup_processor_mode: 1
amdhsa.target:   amdgcn-amd-amdhsa--gfx1201
amdhsa.version:
  - 1
  - 2
...

	.end_amdgpu_metadata
